;; amdgpu-corpus repo=ROCm/rocFFT kind=compiled arch=gfx906 opt=O3
	.text
	.amdgcn_target "amdgcn-amd-amdhsa--gfx906"
	.amdhsa_code_object_version 6
	.protected	fft_rtc_back_len81_factors_3_3_3_3_wgs_432_tpt_27_sp_op_CI_CI_sbcc_twdbase6_3step_dirReg ; -- Begin function fft_rtc_back_len81_factors_3_3_3_3_wgs_432_tpt_27_sp_op_CI_CI_sbcc_twdbase6_3step_dirReg
	.globl	fft_rtc_back_len81_factors_3_3_3_3_wgs_432_tpt_27_sp_op_CI_CI_sbcc_twdbase6_3step_dirReg
	.p2align	8
	.type	fft_rtc_back_len81_factors_3_3_3_3_wgs_432_tpt_27_sp_op_CI_CI_sbcc_twdbase6_3step_dirReg,@function
fft_rtc_back_len81_factors_3_3_3_3_wgs_432_tpt_27_sp_op_CI_CI_sbcc_twdbase6_3step_dirReg: ; @fft_rtc_back_len81_factors_3_3_3_3_wgs_432_tpt_27_sp_op_CI_CI_sbcc_twdbase6_3step_dirReg
; %bb.0:
	s_load_dwordx8 s[8:15], s[4:5], 0x8
	s_load_dwordx2 s[28:29], s[4:5], 0x28
	s_movk_i32 s0, 0xc0
	v_cmp_gt_u32_e32 vcc, s0, v0
	s_and_saveexec_b64 s[0:1], vcc
	s_cbranch_execz .LBB0_2
; %bb.1:
	v_lshlrev_b32_e32 v3, 3, v0
	s_waitcnt lgkmcnt(0)
	global_load_dwordx2 v[1:2], v3, s[8:9]
	v_add_u32_e32 v3, 0, v3
	s_waitcnt vmcnt(0)
	ds_write_b64 v3, v[1:2] offset:10368
.LBB0_2:
	s_or_b64 exec, exec, s[0:1]
	s_waitcnt lgkmcnt(0)
	s_load_dwordx2 s[30:31], s[12:13], 0x8
	s_mov_b32 s7, 0
	s_mov_b64 s[2:3], 0
	s_waitcnt lgkmcnt(0)
	s_add_u32 s0, s30, -1
	s_addc_u32 s1, s31, -1
	s_lshr_b64 s[0:1], s[0:1], 4
	s_add_u32 s34, s0, 1
	s_addc_u32 s35, s1, 0
	v_mov_b32_e32 v1, s34
	v_mov_b32_e32 v2, s35
	v_cmp_lt_u64_e32 vcc, s[6:7], v[1:2]
	s_cbranch_vccnz .LBB0_4
; %bb.3:
	v_cvt_f32_u32_e32 v1, s34
	s_sub_i32 s0, 0, s34
	v_rcp_iflag_f32_e32 v1, v1
	v_mul_f32_e32 v1, 0x4f7ffffe, v1
	v_cvt_u32_f32_e32 v1, v1
	v_readfirstlane_b32 s1, v1
	s_mul_i32 s0, s0, s1
	s_mul_hi_u32 s0, s1, s0
	s_add_i32 s1, s1, s0
	s_mul_hi_u32 s0, s6, s1
	s_mul_i32 s2, s0, s34
	s_sub_i32 s2, s6, s2
	s_add_i32 s1, s0, 1
	s_sub_i32 s3, s2, s34
	s_cmp_ge_u32 s2, s34
	s_cselect_b32 s0, s1, s0
	s_cselect_b32 s2, s3, s2
	s_add_i32 s1, s0, 1
	s_cmp_ge_u32 s2, s34
	s_cselect_b32 s2, s1, s0
	s_mov_b32 s3, s7
.LBB0_4:
	s_load_dwordx4 s[20:23], s[4:5], 0x60
	s_load_dwordx2 s[8:9], s[4:5], 0x0
	s_load_dwordx4 s[24:27], s[14:15], 0x0
	s_mul_i32 s0, s2, s35
	s_mul_hi_u32 s1, s2, s34
	s_add_i32 s1, s1, s0
	s_mul_i32 s0, s2, s34
	s_sub_u32 s0, s6, s0
	s_subb_u32 s1, 0, s1
	v_mov_b32_e32 v1, s0
	s_load_dwordx4 s[16:19], s[28:29], 0x0
	v_alignbit_b32 v1, s1, v1, 28
	s_waitcnt lgkmcnt(0)
	v_mul_lo_u32 v2, s26, v1
	s_lshl_b64 s[4:5], s[0:1], 4
	s_mul_hi_u32 s0, s26, s4
	v_mul_lo_u32 v1, s18, v1
	v_add_u32_e32 v2, s0, v2
	s_mul_i32 s0, s27, s4
	v_add_u32_e32 v4, s0, v2
	s_mul_i32 s0, s26, s4
	v_mov_b32_e32 v3, s0
	s_mul_hi_u32 s0, s18, s4
	v_add_u32_e32 v1, s0, v1
	s_mul_i32 s0, s19, s4
	v_add_u32_e32 v2, s0, v1
	v_cmp_lt_u64_e64 s[0:1], s[10:11], 3
	s_mul_i32 s33, s18, s4
	v_mov_b32_e32 v1, s33
	s_and_b64 vcc, exec, s[0:1]
	s_cbranch_vccnz .LBB0_13
; %bb.5:
	s_add_u32 s36, s28, 16
	s_addc_u32 s37, s29, 0
	s_add_u32 s38, s14, 16
	s_addc_u32 s39, s15, 0
	s_add_u32 s12, s12, 16
	v_mov_b32_e32 v5, s10
	s_addc_u32 s13, s13, 0
	s_mov_b64 s[40:41], 2
	s_mov_b32 s42, 0
	v_mov_b32_e32 v6, s11
	s_branch .LBB0_7
.LBB0_6:                                ;   in Loop: Header=BB0_7 Depth=1
	s_mul_i32 s33, s44, s35
	s_mul_hi_u32 s35, s44, s34
	s_add_i32 s33, s35, s33
	s_mul_i32 s35, s45, s34
	s_add_i32 s35, s33, s35
	s_mul_i32 s33, s0, s45
	s_mul_hi_u32 s43, s0, s44
	s_load_dwordx2 s[46:47], s[38:39], 0x0
	s_add_i32 s33, s43, s33
	s_mul_i32 s43, s1, s44
	s_add_i32 s33, s33, s43
	s_mul_i32 s43, s0, s44
	s_sub_u32 s43, s2, s43
	s_subb_u32 s33, s3, s33
	s_waitcnt lgkmcnt(0)
	s_mul_i32 s2, s46, s33
	s_mul_hi_u32 s3, s46, s43
	s_add_i32 s2, s3, s2
	s_mul_i32 s3, s47, s43
	s_add_i32 s2, s2, s3
	v_mov_b32_e32 v7, s2
	s_load_dwordx2 s[2:3], s[36:37], 0x0
	s_mul_i32 s34, s44, s34
	s_mul_i32 s44, s46, s43
	v_add_co_u32_e32 v3, vcc, s44, v3
	s_waitcnt lgkmcnt(0)
	s_mul_i32 s33, s2, s33
	s_mul_hi_u32 s44, s2, s43
	s_add_i32 s33, s44, s33
	s_mul_i32 s3, s3, s43
	s_add_i32 s3, s33, s3
	s_add_u32 s40, s40, 1
	s_addc_u32 s41, s41, 0
	v_addc_co_u32_e32 v4, vcc, v7, v4, vcc
	s_mul_i32 s2, s2, s43
	s_add_u32 s36, s36, 8
	v_mov_b32_e32 v7, s3
	v_add_co_u32_e32 v1, vcc, s2, v1
	s_addc_u32 s37, s37, 0
	v_addc_co_u32_e32 v2, vcc, v7, v2, vcc
	s_add_u32 s38, s38, 8
	s_addc_u32 s39, s39, 0
	v_cmp_ge_u64_e32 vcc, s[40:41], v[5:6]
	s_add_u32 s12, s12, 8
	s_addc_u32 s13, s13, 0
	s_mov_b64 s[2:3], s[0:1]
	s_cbranch_vccnz .LBB0_11
.LBB0_7:                                ; =>This Inner Loop Header: Depth=1
	s_load_dwordx2 s[44:45], s[12:13], 0x0
	s_waitcnt lgkmcnt(0)
	s_or_b64 s[0:1], s[2:3], s[44:45]
	s_mov_b32 s43, s1
	s_cmp_lg_u64 s[42:43], 0
	s_cbranch_scc0 .LBB0_9
; %bb.8:                                ;   in Loop: Header=BB0_7 Depth=1
	v_cvt_f32_u32_e32 v7, s44
	v_cvt_f32_u32_e32 v8, s45
	s_sub_u32 s0, 0, s44
	s_subb_u32 s1, 0, s45
	v_mac_f32_e32 v7, 0x4f800000, v8
	v_rcp_f32_e32 v7, v7
	v_mul_f32_e32 v7, 0x5f7ffffc, v7
	v_mul_f32_e32 v8, 0x2f800000, v7
	v_trunc_f32_e32 v8, v8
	v_mac_f32_e32 v7, 0xcf800000, v8
	v_cvt_u32_f32_e32 v8, v8
	v_cvt_u32_f32_e32 v7, v7
	v_readfirstlane_b32 s33, v8
	v_readfirstlane_b32 s43, v7
	s_mul_i32 s46, s0, s33
	s_mul_hi_u32 s48, s0, s43
	s_mul_i32 s47, s1, s43
	s_add_i32 s46, s48, s46
	s_mul_i32 s49, s0, s43
	s_add_i32 s46, s46, s47
	s_mul_hi_u32 s47, s43, s46
	s_mul_i32 s48, s43, s46
	s_mul_hi_u32 s43, s43, s49
	s_add_u32 s43, s43, s48
	s_addc_u32 s47, 0, s47
	s_mul_hi_u32 s50, s33, s49
	s_mul_i32 s49, s33, s49
	s_add_u32 s43, s43, s49
	s_mul_hi_u32 s48, s33, s46
	s_addc_u32 s43, s47, s50
	s_addc_u32 s47, s48, 0
	s_mul_i32 s46, s33, s46
	s_add_u32 s43, s43, s46
	s_addc_u32 s46, 0, s47
	v_add_co_u32_e32 v7, vcc, s43, v7
	s_cmp_lg_u64 vcc, 0
	s_addc_u32 s33, s33, s46
	v_readfirstlane_b32 s46, v7
	s_mul_i32 s43, s0, s33
	s_mul_hi_u32 s47, s0, s46
	s_add_i32 s43, s47, s43
	s_mul_i32 s1, s1, s46
	s_add_i32 s43, s43, s1
	s_mul_i32 s0, s0, s46
	s_mul_hi_u32 s47, s33, s0
	s_mul_i32 s48, s33, s0
	s_mul_i32 s50, s46, s43
	s_mul_hi_u32 s0, s46, s0
	s_mul_hi_u32 s49, s46, s43
	s_add_u32 s0, s0, s50
	s_addc_u32 s46, 0, s49
	s_add_u32 s0, s0, s48
	s_mul_hi_u32 s1, s33, s43
	s_addc_u32 s0, s46, s47
	s_addc_u32 s1, s1, 0
	s_mul_i32 s43, s33, s43
	s_add_u32 s0, s0, s43
	s_addc_u32 s1, 0, s1
	v_add_co_u32_e32 v7, vcc, s0, v7
	s_cmp_lg_u64 vcc, 0
	s_addc_u32 s0, s33, s1
	v_readfirstlane_b32 s43, v7
	s_mul_i32 s33, s2, s0
	s_mul_hi_u32 s46, s2, s43
	s_mul_hi_u32 s1, s2, s0
	s_add_u32 s33, s46, s33
	s_addc_u32 s1, 0, s1
	s_mul_hi_u32 s47, s3, s43
	s_mul_i32 s43, s3, s43
	s_add_u32 s33, s33, s43
	s_mul_hi_u32 s46, s3, s0
	s_addc_u32 s1, s1, s47
	s_addc_u32 s33, s46, 0
	s_mul_i32 s0, s3, s0
	s_add_u32 s43, s1, s0
	s_addc_u32 s33, 0, s33
	s_mul_i32 s0, s44, s33
	s_mul_hi_u32 s1, s44, s43
	s_add_i32 s0, s1, s0
	s_mul_i32 s1, s45, s43
	s_add_i32 s46, s0, s1
	s_mul_i32 s1, s44, s43
	v_mov_b32_e32 v7, s1
	s_sub_i32 s0, s3, s46
	v_sub_co_u32_e32 v7, vcc, s2, v7
	s_cmp_lg_u64 vcc, 0
	s_subb_u32 s47, s0, s45
	v_subrev_co_u32_e64 v8, s[0:1], s44, v7
	s_cmp_lg_u64 s[0:1], 0
	s_subb_u32 s0, s47, 0
	s_cmp_ge_u32 s0, s45
	v_readfirstlane_b32 s47, v8
	s_cselect_b32 s1, -1, 0
	s_cmp_ge_u32 s47, s44
	s_cselect_b32 s47, -1, 0
	s_cmp_eq_u32 s0, s45
	s_cselect_b32 s0, s47, s1
	s_add_u32 s1, s43, 1
	s_addc_u32 s47, s33, 0
	s_add_u32 s48, s43, 2
	s_addc_u32 s49, s33, 0
	s_cmp_lg_u32 s0, 0
	s_cselect_b32 s0, s48, s1
	s_cselect_b32 s1, s49, s47
	s_cmp_lg_u64 vcc, 0
	s_subb_u32 s46, s3, s46
	s_cmp_ge_u32 s46, s45
	v_readfirstlane_b32 s48, v7
	s_cselect_b32 s47, -1, 0
	s_cmp_ge_u32 s48, s44
	s_cselect_b32 s48, -1, 0
	s_cmp_eq_u32 s46, s45
	s_cselect_b32 s46, s48, s47
	s_cmp_lg_u32 s46, 0
	s_cselect_b32 s1, s1, s33
	s_cselect_b32 s0, s0, s43
	s_cbranch_execnz .LBB0_6
	s_branch .LBB0_10
.LBB0_9:                                ;   in Loop: Header=BB0_7 Depth=1
                                        ; implicit-def: $sgpr0_sgpr1
.LBB0_10:                               ;   in Loop: Header=BB0_7 Depth=1
	v_cvt_f32_u32_e32 v7, s44
	s_sub_i32 s0, 0, s44
	v_rcp_iflag_f32_e32 v7, v7
	v_mul_f32_e32 v7, 0x4f7ffffe, v7
	v_cvt_u32_f32_e32 v7, v7
	v_readfirstlane_b32 s1, v7
	s_mul_i32 s0, s0, s1
	s_mul_hi_u32 s0, s1, s0
	s_add_i32 s1, s1, s0
	s_mul_hi_u32 s0, s2, s1
	s_mul_i32 s33, s0, s44
	s_sub_i32 s33, s2, s33
	s_add_i32 s1, s0, 1
	s_sub_i32 s43, s33, s44
	s_cmp_ge_u32 s33, s44
	s_cselect_b32 s0, s1, s0
	s_cselect_b32 s33, s43, s33
	s_add_i32 s1, s0, 1
	s_cmp_ge_u32 s33, s44
	s_cselect_b32 s0, s1, s0
	s_mov_b32 s1, s42
	s_branch .LBB0_6
.LBB0_11:
	v_mov_b32_e32 v5, s34
	v_mov_b32_e32 v6, s35
	v_cmp_lt_u64_e32 vcc, s[6:7], v[5:6]
	s_mov_b64 s[2:3], 0
	s_cbranch_vccnz .LBB0_13
; %bb.12:
	v_cvt_f32_u32_e32 v5, s34
	s_sub_i32 s0, 0, s34
	v_rcp_iflag_f32_e32 v5, v5
	v_mul_f32_e32 v5, 0x4f7ffffe, v5
	v_cvt_u32_f32_e32 v5, v5
	v_readfirstlane_b32 s1, v5
	s_mul_i32 s0, s0, s1
	s_mul_hi_u32 s0, s1, s0
	s_add_i32 s1, s1, s0
	s_mul_hi_u32 s0, s6, s1
	s_mul_i32 s2, s0, s34
	s_sub_i32 s2, s6, s2
	s_add_i32 s1, s0, 1
	s_sub_i32 s3, s2, s34
	s_cmp_ge_u32 s2, s34
	s_cselect_b32 s0, s1, s0
	s_cselect_b32 s2, s3, s2
	s_add_i32 s1, s0, 1
	s_cmp_ge_u32 s2, s34
	s_cselect_b32 s2, s1, s0
.LBB0_13:
	s_lshl_b64 s[10:11], s[10:11], 3
	s_add_u32 s6, s28, s10
	s_addc_u32 s7, s29, s11
	v_and_b32_e32 v12, 15, v0
	s_add_u32 s0, s4, 16
	v_mov_b32_e32 v7, s30
	v_or_b32_e32 v5, s4, v12
	v_mov_b32_e32 v6, s5
	s_addc_u32 s1, s5, 0
	v_mov_b32_e32 v8, s31
	v_cmp_le_u64_e32 vcc, s[0:1], v[7:8]
	v_cmp_gt_u64_e64 s[0:1], s[30:31], v[5:6]
	v_lshrrev_b32_e32 v13, 4, v0
	s_or_b64 s[4:5], vcc, s[0:1]
                                        ; implicit-def: $vgpr11
                                        ; implicit-def: $vgpr9
                                        ; implicit-def: $vgpr7
	s_and_saveexec_b64 s[0:1], s[4:5]
	s_cbranch_execz .LBB0_15
; %bb.14:
	s_add_u32 s10, s14, s10
	s_addc_u32 s11, s15, s11
	s_load_dwordx2 s[10:11], s[10:11], 0x0
	v_mad_u64_u32 v[6:7], s[12:13], s26, v12, 0
	v_mad_u64_u32 v[8:9], s[12:13], s24, v13, 0
	s_waitcnt lgkmcnt(0)
	s_mul_i32 s3, s11, s2
	s_mul_hi_u32 s11, s10, s2
	v_mad_u64_u32 v[10:11], s[12:13], s27, v12, v[7:8]
	v_mov_b32_e32 v7, v9
	v_mad_u64_u32 v[14:15], s[12:13], s25, v13, v[7:8]
	s_add_i32 s11, s11, s3
	s_mul_i32 s10, s10, s2
	s_lshl_b64 s[10:11], s[10:11], 3
	s_add_u32 s3, s20, s10
	v_lshlrev_b64 v[3:4], 3, v[3:4]
	s_addc_u32 s10, s21, s11
	v_mov_b32_e32 v7, v10
	v_mov_b32_e32 v9, v14
	;; [unrolled: 1-line block ×3, first 2 shown]
	v_add_co_u32_e32 v11, vcc, s3, v3
	v_add_u32_e32 v14, 27, v13
	v_addc_co_u32_e32 v10, vcc, v10, v4, vcc
	v_lshlrev_b64 v[3:4], 3, v[6:7]
	v_mad_u64_u32 v[6:7], s[10:11], s24, v14, 0
	v_add_co_u32_e32 v11, vcc, v11, v3
	v_addc_co_u32_e32 v17, vcc, v10, v4, vcc
	v_lshlrev_b64 v[3:4], 3, v[8:9]
	v_mad_u64_u32 v[7:8], s[10:11], s25, v14, v[7:8]
	v_add_u32_e32 v10, 54, v13
	v_mad_u64_u32 v[8:9], s[10:11], s24, v10, 0
	v_add_co_u32_e32 v3, vcc, v11, v3
	v_mad_u64_u32 v[9:10], s[10:11], s25, v10, v[9:10]
	v_lshlrev_b64 v[6:7], 3, v[6:7]
	v_addc_co_u32_e32 v4, vcc, v17, v4, vcc
	v_add_co_u32_e32 v14, vcc, v11, v6
	v_addc_co_u32_e32 v15, vcc, v17, v7, vcc
	v_lshlrev_b64 v[6:7], 3, v[8:9]
	v_add_co_u32_e32 v16, vcc, v11, v6
	v_addc_co_u32_e32 v17, vcc, v17, v7, vcc
	global_load_dwordx2 v[6:7], v[3:4], off
	global_load_dwordx2 v[8:9], v[14:15], off
	;; [unrolled: 1-line block ×3, first 2 shown]
.LBB0_15:
	s_or_b64 exec, exec, s[0:1]
	s_waitcnt vmcnt(0)
	v_add_f32_e32 v4, v10, v8
	v_add_f32_e32 v3, v8, v6
	v_fmac_f32_e32 v6, -0.5, v4
	v_sub_f32_e32 v4, v9, v11
	v_mov_b32_e32 v14, v6
	v_fmac_f32_e32 v14, 0xbf5db3d7, v4
	v_fmac_f32_e32 v6, 0x3f5db3d7, v4
	v_add_f32_e32 v4, v9, v7
	v_add_f32_e32 v9, v11, v9
	v_fmac_f32_e32 v7, -0.5, v9
	v_sub_f32_e32 v8, v8, v10
	v_mov_b32_e32 v15, v7
	v_fmac_f32_e32 v15, 0x3f5db3d7, v8
	v_fmac_f32_e32 v7, 0xbf5db3d7, v8
	v_mul_u32_u24_e32 v8, 0x180, v13
	v_lshlrev_b32_e32 v18, 3, v12
	v_add_f32_e32 v3, v10, v3
	v_add_f32_e32 v4, v11, v4
	v_add3_u32 v10, 0, v8, v18
	s_mov_b32 s3, 0x55555556
	s_load_dwordx2 s[0:1], s[6:7], 0x0
	ds_write2_b64 v10, v[3:4], v[14:15] offset1:16
	ds_write_b64 v10, v[6:7] offset:256
	v_mul_hi_u32 v3, v13, s3
	s_waitcnt lgkmcnt(0)
	s_barrier
	v_lshl_add_u32 v3, v3, 1, v3
	v_sub_u32_e32 v3, v13, v3
	v_lshlrev_b32_e32 v4, 4, v3
	global_load_dwordx4 v[6:9], v4, s[8:9]
	v_lshlrev_b32_e32 v4, 8, v13
	v_sub_u32_e32 v4, v10, v4
	ds_read_b64 v[10:11], v4
	ds_read_b64 v[14:15], v4 offset:3456
	ds_read_b64 v[16:17], v4 offset:6912
	s_mov_b32 s3, 0x5555556
	s_mov_b32 s6, 0x1c71c71d
	v_mul_hi_u32 v19, v0, s3
	v_mul_hi_u32 v20, v13, s6
	s_waitcnt vmcnt(0) lgkmcnt(0)
	s_barrier
	v_mul_u32_u24_e32 v19, 9, v19
	v_lshl_add_u32 v20, v20, 3, v20
	v_sub_u32_e32 v20, v13, v20
	v_add_lshl_u32 v3, v19, v3, 7
	v_lshlrev_b32_e32 v19, 4, v20
	v_add3_u32 v3, 0, v3, v18
	s_mov_b32 s3, 0x1c71c72
	v_mul_f32_e32 v21, v7, v15
	v_mul_f32_e32 v7, v7, v14
	;; [unrolled: 1-line block ×4, first 2 shown]
	v_fmac_f32_e32 v21, v6, v14
	v_fma_f32 v6, v6, v15, -v7
	v_fmac_f32_e32 v22, v8, v16
	v_fma_f32 v7, v8, v17, -v9
	v_add_f32_e32 v9, v21, v22
	v_add_f32_e32 v16, v6, v7
	;; [unrolled: 1-line block ×4, first 2 shown]
	v_fma_f32 v10, -0.5, v9, v10
	v_fmac_f32_e32 v11, -0.5, v16
	v_sub_f32_e32 v14, v6, v7
	v_sub_f32_e32 v17, v21, v22
	v_add_f32_e32 v6, v8, v22
	v_mov_b32_e32 v8, v10
	v_mov_b32_e32 v9, v11
	v_add_f32_e32 v7, v15, v7
	v_fmac_f32_e32 v10, 0x3f5db3d7, v14
	v_fmac_f32_e32 v11, 0xbf5db3d7, v17
	;; [unrolled: 1-line block ×4, first 2 shown]
	ds_write_b64 v3, v[10:11] offset:768
	ds_write2_b64 v3, v[6:7], v[8:9] offset1:48
	s_waitcnt lgkmcnt(0)
	s_barrier
	global_load_dwordx4 v[6:9], v19, s[8:9] offset:48
	v_mul_hi_u32 v3, v0, s3
	ds_read_b64 v[10:11], v4
	ds_read_b64 v[14:15], v4 offset:3456
	ds_read_b64 v[16:17], v4 offset:6912
	s_waitcnt vmcnt(0) lgkmcnt(0)
	s_barrier
	v_mul_u32_u24_e32 v3, 27, v3
	v_add_lshl_u32 v3, v3, v20, 7
	v_add3_u32 v3, 0, v3, v18
	v_mul_f32_e32 v18, v7, v15
	v_mul_f32_e32 v7, v7, v14
	;; [unrolled: 1-line block ×4, first 2 shown]
	v_fmac_f32_e32 v18, v6, v14
	v_fma_f32 v6, v6, v15, -v7
	v_fmac_f32_e32 v19, v8, v16
	v_fma_f32 v7, v8, v17, -v9
	v_add_f32_e32 v9, v18, v19
	v_add_f32_e32 v16, v6, v7
	;; [unrolled: 1-line block ×3, first 2 shown]
	v_sub_f32_e32 v14, v6, v7
	v_add_f32_e32 v15, v6, v11
	v_sub_f32_e32 v17, v18, v19
	v_fma_f32 v10, -0.5, v9, v10
	v_fmac_f32_e32 v11, -0.5, v16
	v_add_f32_e32 v6, v8, v19
	v_mov_b32_e32 v8, v10
	v_fmac_f32_e32 v10, 0x3f5db3d7, v14
	v_mov_b32_e32 v9, v11
	v_fmac_f32_e32 v11, 0xbf5db3d7, v17
	v_add_f32_e32 v7, v15, v7
	v_fmac_f32_e32 v8, 0xbf5db3d7, v14
	v_fmac_f32_e32 v9, 0x3f5db3d7, v17
	ds_write_b64 v3, v[10:11] offset:2304
	ds_write2_b64 v3, v[6:7], v[8:9] offset1:144
	s_waitcnt lgkmcnt(0)
	s_barrier
	s_and_saveexec_b64 s[6:7], s[4:5]
	s_cbranch_execz .LBB0_17
; %bb.16:
	s_mov_b32 s3, 0x97b425f
	v_mul_hi_u32 v3, v13, s3
	s_movk_i32 s4, 0xffe5
	s_add_i32 s3, 0, 0x2880
	s_mul_i32 s1, s1, s2
	v_mul_u32_u24_e32 v3, 27, v3
	v_sub_u32_e32 v3, v13, v3
	v_lshlrev_b32_e32 v6, 4, v3
	global_load_dwordx4 v[6:9], v6, s[8:9] offset:192
	v_add_u32_e32 v15, 54, v3
	v_mul_lo_u32 v15, v15, v5
	ds_read_b64 v[10:11], v4 offset:3456
	ds_read_b64 v[13:14], v4 offset:6912
	v_mul_lo_u32 v18, v3, v5
	v_mul_hi_u32_u24_e32 v0, 0x97b426, v0
	v_and_b32_e32 v20, 63, v15
	v_lshrrev_b32_e32 v21, 3, v15
	v_mad_u64_u32 v[16:17], s[4:5], v5, s4, v[15:16]
	v_lshl_add_u32 v5, v20, 3, 0
	v_and_b32_e32 v17, 0x1f8, v21
	v_add_u32_e32 v17, s3, v17
	v_lshrrev_b32_e32 v19, 9, v18
	s_mul_hi_u32 s4, s0, s2
	s_mul_i32 s0, s0, s2
	s_add_i32 s1, s4, s1
	s_lshl_b64 s[0:1], s[0:1], 3
	s_add_u32 s0, s22, s0
	s_addc_u32 s1, s23, s1
	s_waitcnt vmcnt(0) lgkmcnt(1)
	v_mul_f32_e32 v20, v7, v10
	v_mul_f32_e32 v21, v7, v11
	v_fma_f32 v20, v6, v11, -v20
	v_fmac_f32_e32 v21, v6, v10
	s_waitcnt lgkmcnt(0)
	v_mul_f32_e32 v6, v9, v13
	v_mul_f32_e32 v22, v9, v14
	v_fma_f32 v23, v8, v14, -v6
	v_fmac_f32_e32 v22, v8, v13
	ds_read_b64 v[5:6], v5 offset:10368
	ds_read_b64 v[7:8], v17 offset:512
	v_lshrrev_b32_e32 v9, 9, v16
	v_and_b32_e32 v9, 0x1f8, v9
	v_add_u32_e32 v9, s3, v9
	ds_read_b64 v[9:10], v9 offset:1024
	s_waitcnt lgkmcnt(1)
	v_mul_f32_e32 v24, v5, v8
	v_mul_f32_e32 v11, v6, v8
	v_fmac_f32_e32 v24, v6, v7
	v_lshrrev_b32_e32 v6, 3, v16
	v_fma_f32 v11, v5, v7, -v11
	v_and_b32_e32 v5, 63, v16
	v_and_b32_e32 v6, 0x1f8, v6
	v_lshl_add_u32 v5, v5, 3, 0
	v_add_u32_e32 v7, s3, v6
	ds_read_b64 v[5:6], v5 offset:10368
	ds_read_b64 v[7:8], v7 offset:512
	v_and_b32_e32 v14, 0x1f8, v19
	v_and_b32_e32 v13, 63, v18
	v_lshl_add_u32 v16, v13, 3, 0
	v_add_u32_e32 v13, s3, v14
	s_waitcnt lgkmcnt(0)
	v_mul_f32_e32 v19, v6, v8
	v_fma_f32 v19, v5, v7, -v19
	v_mul_f32_e32 v8, v5, v8
	v_lshrrev_b32_e32 v5, 9, v15
	v_and_b32_e32 v5, 0x1f8, v5
	v_add_u32_e32 v5, s3, v5
	ds_read_b64 v[13:14], v13 offset:1024
	ds_read_b64 v[16:17], v16 offset:10368
	v_fmac_f32_e32 v8, v6, v7
	ds_read_b64 v[5:6], v5 offset:1024
	v_sub_f32_e32 v25, v20, v23
	s_waitcnt lgkmcnt(0)
	v_mul_f32_e32 v7, v24, v6
	v_fma_f32 v15, v5, v11, -v7
	v_mul_f32_e32 v11, v11, v6
	v_fmac_f32_e32 v11, v5, v24
	ds_read_b64 v[4:5], v4
	v_mul_f32_e32 v6, v8, v10
	v_mul_f32_e32 v7, v19, v10
	v_fma_f32 v19, v9, v19, -v6
	v_fmac_f32_e32 v7, v9, v8
	v_add_f32_e32 v9, v21, v22
	v_add_f32_e32 v6, v20, v23
	s_waitcnt lgkmcnt(0)
	v_fma_f32 v24, -0.5, v9, v4
	v_sub_f32_e32 v8, v21, v22
	v_fma_f32 v10, -0.5, v6, v5
	v_mov_b32_e32 v26, v24
	v_fmac_f32_e32 v24, 0xbf5db3d7, v25
	v_mov_b32_e32 v9, v10
	v_fmac_f32_e32 v10, 0x3f5db3d7, v8
	v_mul_f32_e32 v27, v24, v7
	v_fmac_f32_e32 v26, 0x3f5db3d7, v25
	v_mul_f32_e32 v6, v10, v7
	v_fma_f32 v7, v10, v19, -v27
	v_fmac_f32_e32 v9, 0xbf5db3d7, v8
	v_mul_f32_e32 v10, v26, v11
	v_mul_f32_e32 v8, v9, v11
	v_fma_f32 v9, v9, v15, -v10
	v_lshrrev_b32_e32 v10, 3, v18
	v_and_b32_e32 v10, 0x1f8, v10
	v_add_u32_e32 v10, s3, v10
	ds_read_b64 v[10:11], v10 offset:512
	v_fmac_f32_e32 v8, v26, v15
	v_fmac_f32_e32 v6, v24, v19
	v_add_f32_e32 v4, v21, v4
	v_add_f32_e32 v5, v20, v5
	s_waitcnt lgkmcnt(0)
	v_mul_f32_e32 v15, v17, v11
	v_mul_f32_e32 v11, v16, v11
	v_fma_f32 v15, v16, v10, -v15
	v_fmac_f32_e32 v11, v17, v10
	v_mul_f32_e32 v10, v11, v14
	v_mul_f32_e32 v18, v15, v14
	v_fma_f32 v16, v13, v15, -v10
	v_fmac_f32_e32 v18, v13, v11
	v_mad_u64_u32 v[10:11], s[2:3], s18, v12, 0
	s_movk_i32 s2, 0x51
	v_mad_u32_u24 v19, v0, s2, v3
	v_mad_u64_u32 v[13:14], s[2:3], s16, v19, 0
	v_mov_b32_e32 v0, v11
	v_mad_u64_u32 v[11:12], s[2:3], s19, v12, v[0:1]
	v_mov_b32_e32 v0, v14
	v_add_f32_e32 v17, v4, v22
	v_mad_u64_u32 v[14:15], s[2:3], s17, v19, v[0:1]
	v_lshlrev_b64 v[0:1], 3, v[1:2]
	v_add_f32_e32 v5, v5, v23
	v_mul_f32_e32 v4, v17, v18
	v_fma_f32 v4, v5, v16, -v4
	v_mul_f32_e32 v3, v5, v18
	v_mov_b32_e32 v2, s1
	v_add_co_u32_e32 v5, vcc, s0, v0
	v_add_u32_e32 v12, 27, v19
	v_addc_co_u32_e32 v2, vcc, v2, v1, vcc
	v_lshlrev_b64 v[0:1], 3, v[10:11]
	v_mad_u64_u32 v[10:11], s[0:1], s16, v12, 0
	v_add_co_u32_e32 v5, vcc, v5, v0
	v_fmac_f32_e32 v3, v17, v16
	v_addc_co_u32_e32 v15, vcc, v2, v1, vcc
	v_mov_b32_e32 v2, v11
	v_lshlrev_b64 v[0:1], 3, v[13:14]
	v_mad_u64_u32 v[11:12], s[0:1], s17, v12, v[2:3]
	v_add_u32_e32 v14, 54, v19
	v_mad_u64_u32 v[12:13], s[0:1], s16, v14, 0
	v_add_co_u32_e32 v0, vcc, v5, v0
	v_addc_co_u32_e32 v1, vcc, v15, v1, vcc
	v_mov_b32_e32 v2, v13
	global_store_dwordx2 v[0:1], v[3:4], off
	v_mad_u64_u32 v[2:3], s[0:1], s17, v14, v[2:3]
	v_lshlrev_b64 v[0:1], 3, v[10:11]
	v_add_co_u32_e32 v0, vcc, v5, v0
	v_addc_co_u32_e32 v1, vcc, v15, v1, vcc
	v_mov_b32_e32 v13, v2
	global_store_dwordx2 v[0:1], v[6:7], off
	v_lshlrev_b64 v[0:1], 3, v[12:13]
	v_add_co_u32_e32 v0, vcc, v5, v0
	v_addc_co_u32_e32 v1, vcc, v15, v1, vcc
	global_store_dwordx2 v[0:1], v[8:9], off
.LBB0_17:
	s_endpgm
	.section	.rodata,"a",@progbits
	.p2align	6, 0x0
	.amdhsa_kernel fft_rtc_back_len81_factors_3_3_3_3_wgs_432_tpt_27_sp_op_CI_CI_sbcc_twdbase6_3step_dirReg
		.amdhsa_group_segment_fixed_size 0
		.amdhsa_private_segment_fixed_size 0
		.amdhsa_kernarg_size 112
		.amdhsa_user_sgpr_count 6
		.amdhsa_user_sgpr_private_segment_buffer 1
		.amdhsa_user_sgpr_dispatch_ptr 0
		.amdhsa_user_sgpr_queue_ptr 0
		.amdhsa_user_sgpr_kernarg_segment_ptr 1
		.amdhsa_user_sgpr_dispatch_id 0
		.amdhsa_user_sgpr_flat_scratch_init 0
		.amdhsa_user_sgpr_private_segment_size 0
		.amdhsa_uses_dynamic_stack 0
		.amdhsa_system_sgpr_private_segment_wavefront_offset 0
		.amdhsa_system_sgpr_workgroup_id_x 1
		.amdhsa_system_sgpr_workgroup_id_y 0
		.amdhsa_system_sgpr_workgroup_id_z 0
		.amdhsa_system_sgpr_workgroup_info 0
		.amdhsa_system_vgpr_workitem_id 0
		.amdhsa_next_free_vgpr 28
		.amdhsa_next_free_sgpr 51
		.amdhsa_reserve_vcc 1
		.amdhsa_reserve_flat_scratch 0
		.amdhsa_float_round_mode_32 0
		.amdhsa_float_round_mode_16_64 0
		.amdhsa_float_denorm_mode_32 3
		.amdhsa_float_denorm_mode_16_64 3
		.amdhsa_dx10_clamp 1
		.amdhsa_ieee_mode 1
		.amdhsa_fp16_overflow 0
		.amdhsa_exception_fp_ieee_invalid_op 0
		.amdhsa_exception_fp_denorm_src 0
		.amdhsa_exception_fp_ieee_div_zero 0
		.amdhsa_exception_fp_ieee_overflow 0
		.amdhsa_exception_fp_ieee_underflow 0
		.amdhsa_exception_fp_ieee_inexact 0
		.amdhsa_exception_int_div_zero 0
	.end_amdhsa_kernel
	.text
.Lfunc_end0:
	.size	fft_rtc_back_len81_factors_3_3_3_3_wgs_432_tpt_27_sp_op_CI_CI_sbcc_twdbase6_3step_dirReg, .Lfunc_end0-fft_rtc_back_len81_factors_3_3_3_3_wgs_432_tpt_27_sp_op_CI_CI_sbcc_twdbase6_3step_dirReg
                                        ; -- End function
	.section	.AMDGPU.csdata,"",@progbits
; Kernel info:
; codeLenInByte = 3196
; NumSgprs: 55
; NumVgprs: 28
; ScratchSize: 0
; MemoryBound: 0
; FloatMode: 240
; IeeeMode: 1
; LDSByteSize: 0 bytes/workgroup (compile time only)
; SGPRBlocks: 6
; VGPRBlocks: 6
; NumSGPRsForWavesPerEU: 55
; NumVGPRsForWavesPerEU: 28
; Occupancy: 9
; WaveLimiterHint : 1
; COMPUTE_PGM_RSRC2:SCRATCH_EN: 0
; COMPUTE_PGM_RSRC2:USER_SGPR: 6
; COMPUTE_PGM_RSRC2:TRAP_HANDLER: 0
; COMPUTE_PGM_RSRC2:TGID_X_EN: 1
; COMPUTE_PGM_RSRC2:TGID_Y_EN: 0
; COMPUTE_PGM_RSRC2:TGID_Z_EN: 0
; COMPUTE_PGM_RSRC2:TIDIG_COMP_CNT: 0
	.type	__hip_cuid_d94ed5ad68f4ac20,@object ; @__hip_cuid_d94ed5ad68f4ac20
	.section	.bss,"aw",@nobits
	.globl	__hip_cuid_d94ed5ad68f4ac20
__hip_cuid_d94ed5ad68f4ac20:
	.byte	0                               ; 0x0
	.size	__hip_cuid_d94ed5ad68f4ac20, 1

	.ident	"AMD clang version 19.0.0git (https://github.com/RadeonOpenCompute/llvm-project roc-6.4.0 25133 c7fe45cf4b819c5991fe208aaa96edf142730f1d)"
	.section	".note.GNU-stack","",@progbits
	.addrsig
	.addrsig_sym __hip_cuid_d94ed5ad68f4ac20
	.amdgpu_metadata
---
amdhsa.kernels:
  - .args:
      - .actual_access:  read_only
        .address_space:  global
        .offset:         0
        .size:           8
        .value_kind:     global_buffer
      - .address_space:  global
        .offset:         8
        .size:           8
        .value_kind:     global_buffer
      - .offset:         16
        .size:           8
        .value_kind:     by_value
      - .actual_access:  read_only
        .address_space:  global
        .offset:         24
        .size:           8
        .value_kind:     global_buffer
      - .actual_access:  read_only
        .address_space:  global
        .offset:         32
        .size:           8
        .value_kind:     global_buffer
      - .actual_access:  read_only
        .address_space:  global
        .offset:         40
        .size:           8
        .value_kind:     global_buffer
      - .offset:         48
        .size:           8
        .value_kind:     by_value
      - .actual_access:  read_only
        .address_space:  global
        .offset:         56
        .size:           8
        .value_kind:     global_buffer
      - .actual_access:  read_only
        .address_space:  global
        .offset:         64
        .size:           8
        .value_kind:     global_buffer
      - .offset:         72
        .size:           4
        .value_kind:     by_value
      - .actual_access:  read_only
        .address_space:  global
        .offset:         80
        .size:           8
        .value_kind:     global_buffer
      - .actual_access:  read_only
        .address_space:  global
        .offset:         88
        .size:           8
        .value_kind:     global_buffer
      - .actual_access:  read_only
        .address_space:  global
        .offset:         96
        .size:           8
        .value_kind:     global_buffer
      - .actual_access:  write_only
        .address_space:  global
        .offset:         104
        .size:           8
        .value_kind:     global_buffer
    .group_segment_fixed_size: 0
    .kernarg_segment_align: 8
    .kernarg_segment_size: 112
    .language:       OpenCL C
    .language_version:
      - 2
      - 0
    .max_flat_workgroup_size: 432
    .name:           fft_rtc_back_len81_factors_3_3_3_3_wgs_432_tpt_27_sp_op_CI_CI_sbcc_twdbase6_3step_dirReg
    .private_segment_fixed_size: 0
    .sgpr_count:     55
    .sgpr_spill_count: 0
    .symbol:         fft_rtc_back_len81_factors_3_3_3_3_wgs_432_tpt_27_sp_op_CI_CI_sbcc_twdbase6_3step_dirReg.kd
    .uniform_work_group_size: 1
    .uses_dynamic_stack: false
    .vgpr_count:     28
    .vgpr_spill_count: 0
    .wavefront_size: 64
amdhsa.target:   amdgcn-amd-amdhsa--gfx906
amdhsa.version:
  - 1
  - 2
...

	.end_amdgpu_metadata
